;; amdgpu-corpus repo=vllm-project/vllm kind=triton arch=gfx950 opt=O3 lang=triton
	.amdgcn_target "amdgcn-amd-amdhsa--gfx950"
	.amdhsa_code_object_version 5
	.text
	.globl	_swiglustep_and_mul_kernel      ; -- Begin function _swiglustep_and_mul_kernel
	.p2align	8
	.type	_swiglustep_and_mul_kernel,@function
_swiglustep_and_mul_kernel:             ; @_swiglustep_and_mul_kernel
.Lfunc_begin0:
	.cfi_sections .debug_frame
	.cfi_startproc
; %bb.3:
	.file	1 "/root/src/amdgpu-assembly/repos/vllm-project__vllm/triton_aot_kernels" "activation_aot.py"
	.loc	1 8 0 prologue_end              ; activation_aot.py:8:0
	s_load_dwordx2 s[2:3], s[0:1], 0x0
	s_load_dwordx8 s[4:11], s[0:1], 0x8
	s_load_dwordx2 s[12:13], s[0:1], 0x28
	s_waitcnt lgkmcnt(0)
	s_branch .LBB0_0
	.loc	1 0 0 is_stmt 0                 ; :0:0
.Ltmp0:
	.p2align	8
; %bb.4:
.LBB0_0:
.Ltmp1:
	.loc	1 21 44 is_stmt 1               ; activation_aot.py:21:44
	v_readfirstlane_b32 s0, v0
	.loc	1 33 34                         ; activation_aot.py:33:34
	s_and_b32 s0, s0, 0xc0
	.loc	1 21 44                         ; activation_aot.py:21:44
	s_nop 0
	v_and_or_b32 v0, v0, 63, s0
	.loc	1 21 31 is_stmt 0               ; activation_aot.py:21:31
	v_lshl_or_b32 v0, s15, 10, v0
	s_movk_i32 s0, 0x1000
	.loc	1 22 21 is_stmt 1               ; activation_aot.py:22:21
	v_cmp_gt_i32_e32 vcc, s0, v0
	.loc	1 24 19                         ; activation_aot.py:24:19
	s_and_saveexec_b64 s[0:1], vcc
	s_cbranch_execz .LBB0_2
; %bb.1:                                ; %.critedge
	.loc	1 20 35                         ; activation_aot.py:20:35
	s_mul_hi_i32 s1, s8, s14
	s_mul_i32 s0, s8, s14
	.loc	1 20 24 is_stmt 0               ; activation_aot.py:20:24
	s_lshl_b64 s[0:1], s[0:1], 1
	s_add_u32 s0, s6, s0
	.loc	1 24 31 is_stmt 1               ; activation_aot.py:24:31
	v_ashrrev_i32_e32 v1, 31, v0
	.loc	1 20 24                         ; activation_aot.py:20:24
	s_addc_u32 s1, s7, s1
	.loc	1 24 31                         ; activation_aot.py:24:31
	v_lshlrev_b64 v[0:1], 1, v[0:1]
	v_lshl_add_u64 v[2:3], s[0:1], 0, v[0:1]
	.loc	1 25 17                         ; activation_aot.py:25:17
	s_movk_i32 s0, 0x2000
	v_add_co_u32_e32 v4, vcc, s0, v2
	.loc	1 19 35                         ; activation_aot.py:19:35
	s_mul_hi_i32 s1, s4, s14
	.loc	1 25 17                         ; activation_aot.py:25:17
	s_nop 0
	v_addc_co_u32_e32 v5, vcc, 0, v3, vcc
	.loc	1 24 19                         ; activation_aot.py:24:19
	global_load_ushort v6, v[2:3], off
	global_load_ushort v7, v[2:3], off offset:512
	global_load_ushort v8, v[2:3], off offset:1024
	;; [unrolled: 1-line block ×3, first 2 shown]
	.loc	1 25 17                         ; activation_aot.py:25:17
	global_load_ushort v10, v[4:5], off offset:1024
	global_load_ushort v11, v[4:5], off offset:1536
	global_load_ushort v12, v[4:5], off
	global_load_ushort v13, v[4:5], off offset:512
	.loc	1 19 35                         ; activation_aot.py:19:35
	s_mul_i32 s0, s4, s14
	s_mov_b32 s6, 0x3fb8aa3b
	.loc	1 19 24 is_stmt 0               ; activation_aot.py:19:24
	s_lshl_b64 s[0:1], s[0:1], 1
	s_mov_b32 s4, 0xc2fc0000
	s_add_u32 s0, s2, s0
.Ltmp2:
	.file	2 "/root/.local/lib/python3.13/site-packages/triton/language" "standard.py"
	.loc	2 50 29 is_stmt 1               ; standard.py:50:29 @[ activation_aot.py:27:27 ]
	v_mov_b32_e32 v3, 0x42800000
.Ltmp3:
	.loc	1 19 24                         ; activation_aot.py:19:24
	s_addc_u32 s1, s3, s1
	.loc	1 33 25                         ; activation_aot.py:33:25
	v_lshl_add_u64 v[0:1], s[0:1], 0, v[0:1]
.Ltmp4:
	.loc	2 50 29                         ; standard.py:50:29 @[ activation_aot.py:27:27 ]
	v_not_b32_e32 v14, 63
	s_mov_b32 s7, 0xc0e00000
.Ltmp5:
	.loc	1 29 52                         ; activation_aot.py:29:52
	v_mov_b32_e32 v15, 0x40e00000
	.loc	1 24 54                         ; activation_aot.py:24:54
	s_waitcnt vmcnt(7)
	v_cvt_f32_f16_e32 v16, v6
	s_waitcnt vmcnt(6)
	v_cvt_f32_f16_e32 v17, v7
	;; [unrolled: 2-line block ×4, first 2 shown]
	.loc	1 25 56                         ; activation_aot.py:25:56
	s_waitcnt vmcnt(3)
	v_cvt_f32_f16_e32 v2, v10
	s_waitcnt vmcnt(2)
	v_cvt_f32_f16_e32 v5, v11
.Ltmp6:
	.loc	2 50 29                         ; standard.py:50:29 @[ activation_aot.py:27:27 ]
	v_mul_f32_e64 v10, -v4, s6
	v_mul_f32_e64 v11, -v18, s6
	v_cmp_gt_f32_e32 vcc, s4, v10
	v_cmp_gt_f32_e64 s[0:1], s4, v11
	v_mul_f32_e64 v19, -v16, s6
	v_cndmask_b32_e32 v10, 0, v3, vcc
	v_cndmask_b32_e64 v11, 0, v3, s[0:1]
	v_fma_mix_f32 v8, -v8, s6, v10 op_sel_hi:[1,0,0]
	v_fma_mix_f32 v9, -v9, s6, v11 op_sel_hi:[1,0,0]
	v_exp_f32_e32 v8, v8
	v_mul_f32_e64 v20, -v17, s6
	v_exp_f32_e32 v9, v9
	v_cmp_gt_f32_e64 s[2:3], s4, v19
	v_cmp_gt_f32_e64 s[4:5], s4, v20
	v_cndmask_b32_e32 v10, 0, v14, vcc
	v_cndmask_b32_e64 v19, 0, v3, s[2:3]
	v_cndmask_b32_e64 v3, 0, v3, s[4:5]
	;; [unrolled: 1-line block ×3, first 2 shown]
	v_fma_mix_f32 v7, -v7, s6, v3 op_sel_hi:[1,0,0]
	v_ldexp_f32 v3, v8, v10
	v_ldexp_f32 v8, v9, v11
	.loc	2 50 20 is_stmt 0               ; standard.py:50:20 @[ activation_aot.py:27:27 ]
	v_add_f32_e32 v3, 1.0, v3
	v_add_f32_e32 v8, 1.0, v8
	.loc	2 50 16                         ; standard.py:50:16 @[ activation_aot.py:27:27 ]
	v_div_scale_f32 v9, s[0:1], v3, v3, 1.0
	v_div_scale_f32 v11, s[0:1], v8, v8, 1.0
	v_rcp_f32_e32 v21, v9
	.loc	2 50 29                         ; standard.py:50:29 @[ activation_aot.py:27:27 ]
	v_fma_mix_f32 v6, -v6, s6, v19 op_sel_hi:[1,0,0]
	.loc	2 50 16                         ; standard.py:50:16 @[ activation_aot.py:27:27 ]
	v_rcp_f32_e32 v22, v11
	.loc	2 50 29                         ; standard.py:50:29 @[ activation_aot.py:27:27 ]
	v_exp_f32_e32 v6, v6
	.loc	2 50 16                         ; standard.py:50:16 @[ activation_aot.py:27:27 ]
	v_fma_f32 v25, -v9, v21, 1.0
	.loc	2 50 29                         ; standard.py:50:29 @[ activation_aot.py:27:27 ]
	v_cndmask_b32_e64 v19, 0, v14, s[2:3]
	.loc	2 50 16                         ; standard.py:50:16 @[ activation_aot.py:27:27 ]
	v_div_scale_f32 v10, vcc, 1.0, v3, 1.0
	v_fma_f32 v26, -v11, v22, 1.0
	v_fmac_f32_e32 v21, v25, v21
	.loc	2 50 29                         ; standard.py:50:29 @[ activation_aot.py:27:27 ]
	v_ldexp_f32 v6, v6, v19
	.loc	2 50 16                         ; standard.py:50:16 @[ activation_aot.py:27:27 ]
	v_div_scale_f32 v19, s[0:1], 1.0, v8, 1.0
	v_fmac_f32_e32 v22, v26, v22
	v_mul_f32_e32 v25, v10, v21
	v_mul_f32_e32 v26, v19, v22
	v_fma_f32 v28, -v9, v25, v10
	v_fma_f32 v29, -v11, v26, v19
	v_fmac_f32_e32 v25, v28, v21
	.loc	2 50 20                         ; standard.py:50:20 @[ activation_aot.py:27:27 ]
	v_add_f32_e32 v6, 1.0, v6
	.loc	2 50 16                         ; standard.py:50:16 @[ activation_aot.py:27:27 ]
	v_fmac_f32_e32 v26, v29, v22
	v_fma_f32 v9, -v9, v25, v10
	v_div_scale_f32 v20, s[2:3], v6, v6, 1.0
	v_fma_f32 v10, -v11, v26, v19
	v_div_fmas_f32 v9, v9, v21, v25
	s_mov_b64 vcc, s[0:1]
	v_rcp_f32_e32 v23, v20
	v_div_fixup_f32 v3, v9, v3, 1.0
	v_div_fmas_f32 v9, v10, v22, v26
.Ltmp7:
	.loc	1 27 35 is_stmt 1               ; activation_aot.py:27:35
	v_mul_f32_e32 v3, v3, v4
.Ltmp8:
	.loc	2 50 16                         ; standard.py:50:16 @[ activation_aot.py:27:27 ]
	v_div_fixup_f32 v8, v9, v8, 1.0
.Ltmp9:
	.loc	1 28 41                         ; activation_aot.py:28:41
	v_min_f32_e32 v4, 0x40e00000, v3
	.loc	1 27 35                         ; activation_aot.py:27:35
	v_mul_f32_e32 v3, v8, v18
	.loc	1 29 52                         ; activation_aot.py:29:52
	v_med3_f32 v2, v2, s7, v15
	v_med3_f32 v5, v5, s7, v15
	.loc	1 28 41                         ; activation_aot.py:28:41
	v_min_f32_e32 v3, 0x40e00000, v3
.Ltmp10:
	.loc	2 50 16                         ; standard.py:50:16 @[ activation_aot.py:27:27 ]
	v_fma_f32 v27, -v20, v23, 1.0
.Ltmp11:
	.loc	1 31 28                         ; activation_aot.py:31:28
	v_pk_mul_f32 v[2:3], v[4:5], v[2:3]
.Ltmp12:
	.loc	2 50 29                         ; standard.py:50:29 @[ activation_aot.py:27:27 ]
	v_exp_f32_e32 v4, v7
	.loc	2 50 16 is_stmt 0               ; standard.py:50:16 @[ activation_aot.py:27:27 ]
	v_div_scale_f32 v24, s[2:3], 1.0, v6, 1.0
	v_fmac_f32_e32 v23, v27, v23
	v_mul_f32_e32 v27, v24, v23
	v_fma_f32 v30, -v20, v27, v24
	.loc	2 50 29                         ; standard.py:50:29 @[ activation_aot.py:27:27 ]
	v_cndmask_b32_e64 v7, 0, v14, s[4:5]
	.loc	2 50 16                         ; standard.py:50:16 @[ activation_aot.py:27:27 ]
	v_fmac_f32_e32 v27, v30, v23
	.loc	2 50 29                         ; standard.py:50:29 @[ activation_aot.py:27:27 ]
	v_ldexp_f32 v4, v4, v7
	.loc	2 50 16                         ; standard.py:50:16 @[ activation_aot.py:27:27 ]
	v_fma_f32 v11, -v20, v27, v24
	s_mov_b64 vcc, s[2:3]
	.loc	2 50 20                         ; standard.py:50:20 @[ activation_aot.py:27:27 ]
	v_add_f32_e32 v7, 1.0, v4
	.loc	2 50 16                         ; standard.py:50:16 @[ activation_aot.py:27:27 ]
	v_div_fmas_f32 v9, v11, v23, v27
	v_div_scale_f32 v8, s[0:1], v7, v7, 1.0
	v_div_fixup_f32 v5, v9, v6, 1.0
	v_rcp_f32_e32 v9, v8
.Ltmp13:
	.loc	1 27 35 is_stmt 1               ; activation_aot.py:27:35
	v_mul_f32_e32 v4, v5, v16
	.loc	1 25 56                         ; activation_aot.py:25:56
	s_waitcnt vmcnt(1)
	v_cvt_f32_f16_e32 v6, v12
	.loc	1 28 41                         ; activation_aot.py:28:41
	v_min_f32_e32 v4, 0x40e00000, v4
.Ltmp14:
	.loc	2 50 16                         ; standard.py:50:16 @[ activation_aot.py:27:27 ]
	v_fma_f32 v5, -v8, v9, 1.0
	v_fmac_f32_e32 v9, v5, v9
	v_div_scale_f32 v5, vcc, 1.0, v7, 1.0
	v_mul_f32_e32 v10, v5, v9
	v_fma_f32 v11, -v8, v10, v5
	v_fmac_f32_e32 v10, v11, v9
	v_fma_f32 v5, -v8, v10, v5
.Ltmp15:
	.loc	1 25 56                         ; activation_aot.py:25:56
	s_waitcnt vmcnt(0)
	v_cvt_f32_f16_e32 v8, v13
.Ltmp16:
	.loc	2 50 16                         ; standard.py:50:16 @[ activation_aot.py:27:27 ]
	v_div_fmas_f32 v5, v5, v9, v10
	v_div_fixup_f32 v5, v5, v7, 1.0
.Ltmp17:
	.loc	1 27 35                         ; activation_aot.py:27:35
	v_mul_f32_e32 v5, v5, v17
	.loc	1 29 52                         ; activation_aot.py:29:52
	v_med3_f32 v6, v6, s7, v15
	.loc	1 28 41                         ; activation_aot.py:28:41
	v_min_f32_e32 v5, 0x40e00000, v5
	.loc	1 29 52                         ; activation_aot.py:29:52
	v_med3_f32 v7, v8, s7, v15
	.loc	1 31 28                         ; activation_aot.py:31:28
	v_pk_mul_f32 v[4:5], v[4:5], v[6:7]
	.loc	1 33 34                         ; activation_aot.py:33:34
	v_cvt_f16_f32_e32 v2, v2
	v_cvt_f16_f32_e32 v4, v4
	;; [unrolled: 1-line block ×4, first 2 shown]
	global_store_short v[0:1], v4, off
	global_store_short v[0:1], v5, off offset:512
	global_store_short v[0:1], v2, off offset:1024
	;; [unrolled: 1-line block ×3, first 2 shown]
.LBB0_2:                                ; %.critedge4
	.loc	1 33 4                          ; activation_aot.py:33:4
	s_endpgm
.Ltmp18:
	.section	.rodata,"a",@progbits
	.p2align	6, 0x0
	.amdhsa_kernel _swiglustep_and_mul_kernel
		.amdhsa_group_segment_fixed_size 0
		.amdhsa_private_segment_fixed_size 0
		.amdhsa_kernarg_size 48
		.amdhsa_user_sgpr_count 14
		.amdhsa_user_sgpr_dispatch_ptr 0
		.amdhsa_user_sgpr_queue_ptr 0
		.amdhsa_user_sgpr_kernarg_segment_ptr 1
		.amdhsa_user_sgpr_dispatch_id 0
		.amdhsa_user_sgpr_kernarg_preload_length 12
		.amdhsa_user_sgpr_kernarg_preload_offset 0
		.amdhsa_user_sgpr_private_segment_size 0
		.amdhsa_uses_dynamic_stack 0
		.amdhsa_enable_private_segment 0
		.amdhsa_system_sgpr_workgroup_id_x 1
		.amdhsa_system_sgpr_workgroup_id_y 1
		.amdhsa_system_sgpr_workgroup_id_z 0
		.amdhsa_system_sgpr_workgroup_info 0
		.amdhsa_system_vgpr_workitem_id 0
		.amdhsa_next_free_vgpr 31
		.amdhsa_next_free_sgpr 16
		.amdhsa_accum_offset 32
		.amdhsa_reserve_vcc 1
		.amdhsa_reserve_xnack_mask 1
		.amdhsa_float_round_mode_32 0
		.amdhsa_float_round_mode_16_64 0
		.amdhsa_float_denorm_mode_32 3
		.amdhsa_float_denorm_mode_16_64 3
		.amdhsa_dx10_clamp 1
		.amdhsa_ieee_mode 1
		.amdhsa_fp16_overflow 0
		.amdhsa_tg_split 0
		.amdhsa_exception_fp_ieee_invalid_op 0
		.amdhsa_exception_fp_denorm_src 0
		.amdhsa_exception_fp_ieee_div_zero 0
		.amdhsa_exception_fp_ieee_overflow 0
		.amdhsa_exception_fp_ieee_underflow 0
		.amdhsa_exception_fp_ieee_inexact 0
		.amdhsa_exception_int_div_zero 0
	.end_amdhsa_kernel
	.text
.Lfunc_end0:
	.size	_swiglustep_and_mul_kernel, .Lfunc_end0-_swiglustep_and_mul_kernel
	.cfi_endproc
                                        ; -- End function
	.set _swiglustep_and_mul_kernel.num_vgpr, 31
	.set _swiglustep_and_mul_kernel.num_agpr, 0
	.set _swiglustep_and_mul_kernel.numbered_sgpr, 16
	.set _swiglustep_and_mul_kernel.num_named_barrier, 0
	.set _swiglustep_and_mul_kernel.private_seg_size, 0
	.set _swiglustep_and_mul_kernel.uses_vcc, 1
	.set _swiglustep_and_mul_kernel.uses_flat_scratch, 0
	.set _swiglustep_and_mul_kernel.has_dyn_sized_stack, 0
	.set _swiglustep_and_mul_kernel.has_recursion, 0
	.set _swiglustep_and_mul_kernel.has_indirect_call, 0
	.section	.AMDGPU.csdata,"",@progbits
; Kernel info:
; codeLenInByte = 1216
; TotalNumSgprs: 22
; NumVgprs: 31
; NumAgprs: 0
; TotalNumVgprs: 31
; ScratchSize: 0
; MemoryBound: 0
; FloatMode: 240
; IeeeMode: 1
; LDSByteSize: 0 bytes/workgroup (compile time only)
; SGPRBlocks: 2
; VGPRBlocks: 3
; NumSGPRsForWavesPerEU: 22
; NumVGPRsForWavesPerEU: 31
; AccumOffset: 32
; Occupancy: 8
; WaveLimiterHint : 1
; COMPUTE_PGM_RSRC2:SCRATCH_EN: 0
; COMPUTE_PGM_RSRC2:USER_SGPR: 14
; COMPUTE_PGM_RSRC2:TRAP_HANDLER: 0
; COMPUTE_PGM_RSRC2:TGID_X_EN: 1
; COMPUTE_PGM_RSRC2:TGID_Y_EN: 1
; COMPUTE_PGM_RSRC2:TGID_Z_EN: 0
; COMPUTE_PGM_RSRC2:TIDIG_COMP_CNT: 0
; COMPUTE_PGM_RSRC3_GFX90A:ACCUM_OFFSET: 7
; COMPUTE_PGM_RSRC3_GFX90A:TG_SPLIT: 0
	.text
	.p2alignl 6, 3212836864
	.fill 256, 4, 3212836864
	.section	.AMDGPU.gpr_maximums,"",@progbits
	.set amdgpu.max_num_vgpr, 0
	.set amdgpu.max_num_agpr, 0
	.set amdgpu.max_num_sgpr, 0
	.set amdgpu.max_num_named_barrier, 0
	.text
	.section	.debug_abbrev,"",@progbits
	.byte	1                               ; Abbreviation Code
	.byte	17                              ; DW_TAG_compile_unit
	.byte	1                               ; DW_CHILDREN_yes
	.byte	37                              ; DW_AT_producer
	.byte	14                              ; DW_FORM_strp
	.byte	19                              ; DW_AT_language
	.byte	5                               ; DW_FORM_data2
	.byte	3                               ; DW_AT_name
	.byte	14                              ; DW_FORM_strp
	.byte	16                              ; DW_AT_stmt_list
	.byte	23                              ; DW_FORM_sec_offset
	.byte	27                              ; DW_AT_comp_dir
	.byte	14                              ; DW_FORM_strp
	.byte	17                              ; DW_AT_low_pc
	.byte	1                               ; DW_FORM_addr
	.byte	18                              ; DW_AT_high_pc
	.byte	6                               ; DW_FORM_data4
	.byte	0                               ; EOM(1)
	.byte	0                               ; EOM(2)
	.byte	2                               ; Abbreviation Code
	.byte	46                              ; DW_TAG_subprogram
	.byte	0                               ; DW_CHILDREN_no
	.byte	3                               ; DW_AT_name
	.byte	14                              ; DW_FORM_strp
	.byte	32                              ; DW_AT_inline
	.byte	11                              ; DW_FORM_data1
	.byte	0                               ; EOM(1)
	.byte	0                               ; EOM(2)
	.byte	3                               ; Abbreviation Code
	.byte	46                              ; DW_TAG_subprogram
	.byte	1                               ; DW_CHILDREN_yes
	.byte	17                              ; DW_AT_low_pc
	.byte	1                               ; DW_FORM_addr
	.byte	18                              ; DW_AT_high_pc
	.byte	6                               ; DW_FORM_data4
	.byte	49                              ; DW_AT_abstract_origin
	.byte	19                              ; DW_FORM_ref4
	.byte	0                               ; EOM(1)
	.byte	0                               ; EOM(2)
	.byte	4                               ; Abbreviation Code
	.byte	29                              ; DW_TAG_inlined_subroutine
	.byte	0                               ; DW_CHILDREN_no
	.byte	49                              ; DW_AT_abstract_origin
	.byte	19                              ; DW_FORM_ref4
	.byte	85                              ; DW_AT_ranges
	.byte	23                              ; DW_FORM_sec_offset
	.byte	88                              ; DW_AT_call_file
	.byte	11                              ; DW_FORM_data1
	.byte	89                              ; DW_AT_call_line
	.byte	11                              ; DW_FORM_data1
	.byte	87                              ; DW_AT_call_column
	.byte	11                              ; DW_FORM_data1
	.byte	0                               ; EOM(1)
	.byte	0                               ; EOM(2)
	;; [unrolled: 1-line block ×3, first 2 shown]
	.section	.debug_info,"",@progbits
.Lcu_begin0:
	.long	.Ldebug_info_end0-.Ldebug_info_start0 ; Length of Unit
.Ldebug_info_start0:
	.short	4                               ; DWARF version number
	.long	.debug_abbrev                   ; Offset Into Abbrev. Section
	.byte	8                               ; Address Size (in bytes)
	.byte	1                               ; Abbrev [1] 0xb:0x44 DW_TAG_compile_unit
	.long	.Linfo_string0                  ; DW_AT_producer
	.short	2                               ; DW_AT_language
	.long	.Linfo_string1                  ; DW_AT_name
	.long	.Lline_table_start0             ; DW_AT_stmt_list
	.long	.Linfo_string2                  ; DW_AT_comp_dir
	.quad	.Lfunc_begin0                   ; DW_AT_low_pc
	.long	.Lfunc_end0-.Lfunc_begin0       ; DW_AT_high_pc
	.byte	2                               ; Abbrev [2] 0x2a:0x6 DW_TAG_subprogram
	.long	.Linfo_string3                  ; DW_AT_name
	.byte	1                               ; DW_AT_inline
	.byte	3                               ; Abbrev [3] 0x30:0x1e DW_TAG_subprogram
	.quad	.Lfunc_begin0                   ; DW_AT_low_pc
	.long	.Lfunc_end0-.Lfunc_begin0       ; DW_AT_high_pc
	.long	42                              ; DW_AT_abstract_origin
	.byte	4                               ; Abbrev [4] 0x41:0xc DW_TAG_inlined_subroutine
	.long	42                              ; DW_AT_abstract_origin
	.long	.Ldebug_ranges0                 ; DW_AT_ranges
	.byte	1                               ; DW_AT_call_file
	.byte	27                              ; DW_AT_call_line
	.byte	27                              ; DW_AT_call_column
	.byte	0                               ; End Of Children Mark
	.byte	0                               ; End Of Children Mark
.Ldebug_info_end0:
	.section	.debug_ranges,"",@progbits
.Ldebug_ranges0:
	.quad	.Ltmp2-.Lfunc_begin0
	.quad	.Ltmp3-.Lfunc_begin0
	;; [unrolled: 1-line block ×16, first 2 shown]
	.quad	0
	.quad	0
	.section	.debug_str,"MS",@progbits,1
.Linfo_string0:
	.asciz	"triton"                        ; string offset=0
.Linfo_string1:
	.asciz	"activation_aot.py"             ; string offset=7
.Linfo_string2:
	.asciz	"/root/src/amdgpu-assembly/repos/vllm-project__vllm/triton_aot_kernels" ; string offset=25
.Linfo_string3:
	.asciz	"_swiglustep_and_mul_kernel"    ; string offset=95
	.section	".note.GNU-stack","",@progbits
	.amdgpu_metadata
---
amdhsa.kernels:
  - .agpr_count:     0
    .args:
      - .address_space:  global
        .offset:         0
        .size:           8
        .value_kind:     global_buffer
      - .offset:         8
        .size:           4
        .value_kind:     by_value
      - .address_space:  global
        .offset:         16
        .size:           8
        .value_kind:     global_buffer
      - .offset:         24
        .size:           4
        .value_kind:     by_value
      - .address_space:  global
        .offset:         32
        .size:           8
        .value_kind:     global_buffer
      - .address_space:  global
        .offset:         40
        .size:           8
        .value_kind:     global_buffer
    .group_segment_fixed_size: 0
    .kernarg_segment_align: 8
    .kernarg_segment_size: 48
    .max_flat_workgroup_size: 256
    .name:           _swiglustep_and_mul_kernel
    .private_segment_fixed_size: 0
    .sgpr_count:     22
    .sgpr_spill_count: 0
    .symbol:         _swiglustep_and_mul_kernel.kd
    .uniform_work_group_size: 1
    .uses_dynamic_stack: false
    .vgpr_count:     31
    .vgpr_spill_count: 0
    .wavefront_size: 64
amdhsa.target:   amdgcn-amd-amdhsa--gfx950
amdhsa.version:
  - 1
  - 2
...

	.end_amdgpu_metadata
	.section	.debug_line,"",@progbits
.Lline_table_start0:
